;; amdgpu-corpus repo=ROCm/rocFFT kind=compiled arch=gfx950 opt=O3
	.text
	.amdgcn_target "amdgcn-amd-amdhsa--gfx950"
	.amdhsa_code_object_version 6
	.protected	fft_rtc_back_len128_factors_2_8_8_wgs_128_tpt_16_dim1_sp_op_CI_CI_unitstride_sbrr_R2C_dirReg ; -- Begin function fft_rtc_back_len128_factors_2_8_8_wgs_128_tpt_16_dim1_sp_op_CI_CI_unitstride_sbrr_R2C_dirReg
	.globl	fft_rtc_back_len128_factors_2_8_8_wgs_128_tpt_16_dim1_sp_op_CI_CI_unitstride_sbrr_R2C_dirReg
	.p2align	8
	.type	fft_rtc_back_len128_factors_2_8_8_wgs_128_tpt_16_dim1_sp_op_CI_CI_unitstride_sbrr_R2C_dirReg,@function
fft_rtc_back_len128_factors_2_8_8_wgs_128_tpt_16_dim1_sp_op_CI_CI_unitstride_sbrr_R2C_dirReg: ; @fft_rtc_back_len128_factors_2_8_8_wgs_128_tpt_16_dim1_sp_op_CI_CI_unitstride_sbrr_R2C_dirReg
; %bb.0:
	s_load_dwordx2 s[6:7], s[0:1], 0x20
	s_load_dwordx2 s[4:5], s[0:1], 0x0
	v_lshrrev_b32_e32 v11, 4, v0
	v_lshl_or_b32 v6, s2, 3, v11
	v_mov_b32_e32 v7, 0
	s_waitcnt lgkmcnt(0)
	v_cmp_gt_u64_e32 vcc, s[6:7], v[6:7]
	v_cmp_le_u64_e64 s[2:3], s[6:7], v[6:7]
	v_and_b32_e32 v2, 15, v0
                                        ; implicit-def: $vgpr4
                                        ; implicit-def: $vgpr10
                                        ; implicit-def: $vgpr8
                                        ; implicit-def: $vgpr1
                                        ; implicit-def: $vgpr3
                                        ; implicit-def: $vgpr5
                                        ; implicit-def: $vgpr9
	s_and_saveexec_b64 s[6:7], s[2:3]
	s_xor_b64 s[2:3], exec, s[6:7]
; %bb.1:
	v_and_b32_e32 v2, 15, v0
	v_or_b32_e32 v4, 16, v2
	v_or_b32_e32 v10, 32, v2
	;; [unrolled: 1-line block ×7, first 2 shown]
; %bb.2:
	s_or_saveexec_b64 s[2:3], s[2:3]
	s_load_dwordx2 s[6:7], s[0:1], 0x18
	v_mul_u32_u24_e32 v7, 0x81, v11
	v_lshlrev_b32_e32 v11, 3, v7
	s_xor_b64 exec, exec, s[2:3]
	s_cbranch_execz .LBB0_4
; %bb.3:
	s_load_dwordx2 s[8:9], s[0:1], 0x10
	v_lshlrev_b32_e32 v12, 3, v2
	v_mov_b32_e32 v13, 0
	v_or_b32_e32 v10, 32, v2
	v_or_b32_e32 v1, 64, v2
	s_waitcnt lgkmcnt(0)
	s_load_dwordx2 s[10:11], s[8:9], 0x8
	s_load_dwordx2 s[12:13], s[0:1], 0x50
	v_or_b32_e32 v3, 0x50, v2
	v_add3_u32 v7, 0, v11, v12
	s_waitcnt lgkmcnt(0)
	v_mad_u64_u32 v[4:5], s[8:9], s10, v6, 0
	v_mov_b32_e32 v8, v5
	v_mad_u64_u32 v[8:9], s[8:9], s11, v6, v[8:9]
	v_mov_b32_e32 v5, v8
	v_lshl_add_u64 v[4:5], v[4:5], 3, s[12:13]
	v_lshl_add_u64 v[4:5], v[4:5], 0, v[12:13]
	global_load_dwordx2 v[14:15], v[4:5], off
	global_load_dwordx2 v[16:17], v[4:5], off offset:128
	global_load_dwordx2 v[18:19], v[4:5], off offset:256
	;; [unrolled: 1-line block ×7, first 2 shown]
	v_or_b32_e32 v4, 16, v2
	v_or_b32_e32 v8, 48, v2
	;; [unrolled: 1-line block ×4, first 2 shown]
	s_waitcnt vmcnt(6)
	ds_write2_b64 v7, v[14:15], v[16:17] offset1:16
	s_waitcnt vmcnt(4)
	ds_write2_b64 v7, v[18:19], v[20:21] offset0:32 offset1:48
	s_waitcnt vmcnt(2)
	ds_write2_b64 v7, v[22:23], v[24:25] offset0:64 offset1:80
	;; [unrolled: 2-line block ×3, first 2 shown]
.LBB0_4:
	s_or_b64 exec, exec, s[2:3]
	v_add_u32_e32 v7, 0, v11
	v_lshlrev_b32_e32 v15, 3, v2
	v_add_u32_e32 v14, v7, v15
	v_add3_u32 v11, 0, v15, v11
	s_waitcnt lgkmcnt(0)
	s_load_dwordx2 s[6:7], s[6:7], 0x8
	s_waitcnt lgkmcnt(0)
	s_barrier
	ds_read2_b64 v[16:19], v11 offset0:48 offset1:64
	ds_read_b64 v[12:13], v11 offset:896
	ds_read2_b64 v[20:23], v11 offset0:16 offset1:32
	ds_read2_b64 v[24:27], v11 offset0:80 offset1:96
	ds_read_b64 v[28:29], v14
	v_add_u32_e32 v30, v11, v15
	s_waitcnt lgkmcnt(3)
	v_pk_add_f32 v[12:13], v[16:17], v[12:13] neg_lo:[0,1] neg_hi:[0,1]
	v_lshl_add_u32 v31, v4, 4, v7
	s_waitcnt lgkmcnt(1)
	v_pk_add_f32 v[26:27], v[22:23], v[26:27] neg_lo:[0,1] neg_hi:[0,1]
	s_waitcnt lgkmcnt(0)
	v_pk_add_f32 v[18:19], v[28:29], v[18:19] neg_lo:[0,1] neg_hi:[0,1]
	v_pk_add_f32 v[24:25], v[20:21], v[24:25] neg_lo:[0,1] neg_hi:[0,1]
	v_pk_fma_f32 v[28:29], v[28:29], 2.0, v[18:19] op_sel_hi:[1,0,1] neg_lo:[0,0,1] neg_hi:[0,0,1]
	v_lshl_add_u32 v32, v10, 4, v7
	v_lshl_add_u32 v33, v8, 4, v7
	v_pk_fma_f32 v[16:17], v[16:17], 2.0, v[12:13] op_sel_hi:[1,0,1] neg_lo:[0,0,1] neg_hi:[0,0,1]
	v_pk_fma_f32 v[22:23], v[22:23], 2.0, v[26:27] op_sel_hi:[1,0,1] neg_lo:[0,0,1] neg_hi:[0,0,1]
	;; [unrolled: 1-line block ×3, first 2 shown]
	s_barrier
	ds_write2_b64 v30, v[28:29], v[18:19] offset1:1
	ds_write2_b64 v31, v[20:21], v[24:25] offset1:1
	;; [unrolled: 1-line block ×4, first 2 shown]
	v_and_b32_e32 v28, 1, v0
	v_mul_u32_u24_e32 v12, 7, v28
	v_lshlrev_b32_e32 v29, 3, v12
	s_waitcnt lgkmcnt(0)
	s_barrier
	global_load_dwordx4 v[16:19], v29, s[4:5]
	global_load_dwordx4 v[20:23], v29, s[4:5] offset:16
	global_load_dwordx4 v[24:27], v29, s[4:5] offset:32
	global_load_dwordx2 v[12:13], v29, s[4:5] offset:48
	v_lshlrev_b32_e32 v30, 3, v10
	v_lshlrev_b32_e32 v29, 3, v4
	;; [unrolled: 1-line block ×4, first 2 shown]
	s_movk_i32 s2, 0x70
	v_sub_u32_e32 v55, v32, v30
	v_and_or_b32 v0, v0, s2, v28
	v_sub_u32_e32 v54, v31, v29
	v_sub_u32_e32 v56, v33, v34
	ds_read_b64 v[32:33], v55
	ds_read_b64 v[34:35], v56
	ds_read2_b32 v[36:37], v11 offset0:192 offset1:193
	ds_read_b64 v[38:39], v54
	ds_read2_b64 v[28:31], v11 offset0:64 offset1:80
	ds_read_b64 v[40:41], v14
	ds_read_b64 v[42:43], v11 offset:896
	v_lshl_add_u32 v57, v0, 3, v7
	s_waitcnt lgkmcnt(4)
	v_mov_b32_e32 v0, v37
	s_mov_b32 s2, 0x3f3504f3
	s_waitcnt lgkmcnt(0)
	s_barrier
	v_lshl_add_u32 v3, v3, 3, v7
	v_lshl_add_u32 v5, v5, 3, v7
	;; [unrolled: 1-line block ×3, first 2 shown]
	v_sub_u32_e32 v15, v7, v15
	s_waitcnt vmcnt(3)
	v_pk_mul_f32 v[44:45], v[16:17], v[38:39] op_sel:[0,1]
	v_pk_mul_f32 v[46:47], v[18:19], v[32:33] op_sel:[0,1]
	s_waitcnt vmcnt(2)
	v_pk_mul_f32 v[48:49], v[20:21], v[34:35] op_sel:[0,1]
	v_pk_fma_f32 v[50:51], v[16:17], v[38:39], v[44:45] op_sel:[0,0,1] op_sel_hi:[1,1,0]
	v_pk_fma_f32 v[16:17], v[16:17], v[38:39], v[44:45] op_sel:[0,0,1] op_sel_hi:[1,0,0] neg_lo:[1,0,0] neg_hi:[1,0,0]
	v_pk_fma_f32 v[38:39], v[18:19], v[32:33], v[46:47] op_sel:[0,0,1] op_sel_hi:[1,1,0]
	v_pk_fma_f32 v[18:19], v[18:19], v[32:33], v[46:47] op_sel:[0,0,1] op_sel_hi:[1,0,0] neg_lo:[1,0,0] neg_hi:[1,0,0]
	v_pk_mul_f32 v[32:33], v[22:23], v[28:29] op_sel:[0,1]
	s_waitcnt vmcnt(1)
	v_pk_mul_f32 v[44:45], v[24:25], v[30:31] op_sel:[0,1]
	v_pk_mul_f32 v[46:47], v[0:1], v[26:27] op_sel_hi:[0,1]
	v_pk_fma_f32 v[52:53], v[20:21], v[34:35], v[48:49] op_sel:[0,0,1] op_sel_hi:[1,1,0]
	v_pk_fma_f32 v[20:21], v[20:21], v[34:35], v[48:49] op_sel:[0,0,1] op_sel_hi:[1,0,0] neg_lo:[1,0,0] neg_hi:[1,0,0]
	v_pk_fma_f32 v[34:35], v[22:23], v[28:29], v[32:33] op_sel:[0,0,1] op_sel_hi:[1,1,0]
	v_pk_fma_f32 v[22:23], v[22:23], v[28:29], v[32:33] op_sel:[0,0,1] op_sel_hi:[1,0,0] neg_lo:[1,0,0] neg_hi:[1,0,0]
	s_waitcnt vmcnt(0)
	v_pk_mul_f32 v[28:29], v[42:43], v[12:13] op_sel:[0,1]
	v_pk_fma_f32 v[32:33], v[24:25], v[30:31], v[44:45] op_sel:[0,0,1] op_sel_hi:[1,1,0]
	v_pk_fma_f32 v[24:25], v[24:25], v[30:31], v[44:45] op_sel:[0,0,1] op_sel_hi:[1,0,0] neg_lo:[1,0,0] neg_hi:[1,0,0]
	v_pk_fma_f32 v[30:31], v[26:27], v[36:37], v[46:47] op_sel:[0,0,1] op_sel_hi:[1,1,0]
	v_pk_fma_f32 v[26:27], v[26:27], v[36:37], v[46:47] op_sel:[0,0,1] op_sel_hi:[1,0,0] neg_lo:[1,0,0] neg_hi:[1,0,0]
	;; [unrolled: 2-line block ×3, first 2 shown]
	v_mov_b32_e32 v39, v19
	v_mov_b32_e32 v35, v23
	;; [unrolled: 1-line block ×7, first 2 shown]
	v_pk_add_f32 v[12:13], v[40:41], v[34:35] neg_lo:[0,1] neg_hi:[0,1]
	v_pk_add_f32 v[16:17], v[38:39], v[30:31] neg_lo:[0,1] neg_hi:[0,1]
	;; [unrolled: 1-line block ×3, first 2 shown]
	v_pk_fma_f32 v[22:23], v[38:39], 2.0, v[16:17] op_sel_hi:[1,0,1] neg_lo:[0,0,1] neg_hi:[0,0,1]
	v_pk_add_f32 v[26:27], v[52:53], v[36:37] neg_lo:[0,1] neg_hi:[0,1]
	v_pk_add_f32 v[30:31], v[12:13], v[16:17] op_sel:[0,1] op_sel_hi:[1,0]
	v_pk_add_f32 v[16:17], v[12:13], v[16:17] op_sel:[0,1] op_sel_hi:[1,0] neg_lo:[0,1] neg_hi:[0,1]
	v_pk_fma_f32 v[28:29], v[52:53], 2.0, v[26:27] op_sel_hi:[1,0,1] neg_lo:[0,0,1] neg_hi:[0,0,1]
	v_mov_b32_e32 v31, v17
	v_pk_add_f32 v[16:17], v[18:19], v[26:27] op_sel:[0,1] op_sel_hi:[1,0]
	v_pk_add_f32 v[26:27], v[18:19], v[26:27] op_sel:[0,1] op_sel_hi:[1,0] neg_lo:[0,1] neg_hi:[0,1]
	v_pk_fma_f32 v[20:21], v[40:41], 2.0, v[12:13] op_sel_hi:[1,0,1] neg_lo:[0,0,1] neg_hi:[0,0,1]
	v_mov_b32_e32 v17, v27
	v_pk_fma_f32 v[24:25], v[50:51], 2.0, v[18:19] op_sel_hi:[1,0,1] neg_lo:[0,0,1] neg_hi:[0,0,1]
	v_pk_fma_f32 v[12:13], v[12:13], 2.0, v[30:31] op_sel_hi:[1,0,1] neg_lo:[0,0,1] neg_hi:[0,0,1]
	;; [unrolled: 1-line block ×3, first 2 shown]
	v_pk_add_f32 v[22:23], v[20:21], v[22:23] neg_lo:[0,1] neg_hi:[0,1]
	v_pk_add_f32 v[28:29], v[24:25], v[28:29] neg_lo:[0,1] neg_hi:[0,1]
	v_pk_mul_f32 v[26:27], v[18:19], s[2:3] op_sel_hi:[1,0]
	v_pk_fma_f32 v[18:19], v[18:19], s[2:3], v[12:13] op_sel_hi:[1,0,1] neg_lo:[1,0,0] neg_hi:[1,0,0]
	v_pk_fma_f32 v[20:21], v[20:21], 2.0, v[22:23] op_sel_hi:[1,0,1] neg_lo:[0,0,1] neg_hi:[0,0,1]
	v_pk_fma_f32 v[24:25], v[24:25], 2.0, v[28:29] op_sel_hi:[1,0,1] neg_lo:[0,0,1] neg_hi:[0,0,1]
	v_pk_add_f32 v[32:33], v[18:19], v[26:27] op_sel:[0,1] op_sel_hi:[1,0]
	v_pk_add_f32 v[18:19], v[18:19], v[26:27] op_sel:[0,1] op_sel_hi:[1,0] neg_lo:[0,1] neg_hi:[0,1]
	v_pk_add_f32 v[24:25], v[20:21], v[24:25] neg_lo:[0,1] neg_hi:[0,1]
	v_mov_b32_e32 v33, v19
	v_pk_fma_f32 v[20:21], v[20:21], 2.0, v[24:25] op_sel_hi:[1,0,1] neg_lo:[0,0,1] neg_hi:[0,0,1]
	v_pk_fma_f32 v[12:13], v[12:13], 2.0, v[32:33] op_sel_hi:[1,0,1] neg_lo:[0,0,1] neg_hi:[0,0,1]
	ds_write2_b64 v57, v[20:21], v[12:13] offset1:2
	v_pk_add_f32 v[12:13], v[22:23], v[28:29] op_sel:[0,1] op_sel_hi:[1,0]
	v_pk_add_f32 v[18:19], v[22:23], v[28:29] op_sel:[0,1] op_sel_hi:[1,0] neg_lo:[0,1] neg_hi:[0,1]
	v_pk_mul_f32 v[20:21], v[16:17], s[2:3] op_sel_hi:[1,0]
	v_mov_b32_e32 v13, v19
	v_pk_fma_f32 v[16:17], v[16:17], s[2:3], v[30:31] op_sel_hi:[1,0,1]
	v_pk_fma_f32 v[18:19], v[22:23], 2.0, v[12:13] op_sel_hi:[1,0,1] neg_lo:[0,0,1] neg_hi:[0,0,1]
	v_pk_add_f32 v[22:23], v[16:17], v[20:21] op_sel:[0,1] op_sel_hi:[1,0]
	v_pk_add_f32 v[16:17], v[16:17], v[20:21] op_sel:[0,1] op_sel_hi:[1,0] neg_lo:[0,1] neg_hi:[0,1]
	v_mul_u32_u24_e32 v0, 7, v2
	v_mov_b32_e32 v23, v17
	v_pk_fma_f32 v[16:17], v[30:31], 2.0, v[22:23] op_sel_hi:[1,0,1] neg_lo:[0,0,1] neg_hi:[0,0,1]
	v_lshlrev_b32_e32 v0, 3, v0
	ds_write2_b64 v57, v[18:19], v[16:17] offset0:4 offset1:6
	ds_write2_b64 v57, v[24:25], v[32:33] offset0:8 offset1:10
	;; [unrolled: 1-line block ×3, first 2 shown]
	s_waitcnt lgkmcnt(0)
	s_barrier
	global_load_dwordx4 v[16:19], v0, s[4:5] offset:128
	global_load_dwordx4 v[20:23], v0, s[4:5] offset:112
	global_load_dwordx2 v[12:13], v0, s[4:5] offset:160
	global_load_dwordx4 v[24:27], v0, s[4:5] offset:144
	v_lshl_add_u32 v43, v1, 3, v7
	ds_read_b64 v[0:1], v55
	ds_read_b64 v[36:37], v56
	ds_read2_b64 v[28:31], v11 offset0:64 offset1:80
	ds_read_b64 v[38:39], v54
	ds_read2_b64 v[32:35], v11 offset0:96 offset1:112
	ds_read_b64 v[40:41], v14
	s_waitcnt lgkmcnt(5)
	v_mov_b32_e32 v42, v1
	s_waitcnt lgkmcnt(4)
	v_mov_b32_e32 v44, v36
	;; [unrolled: 2-line block ×4, first 2 shown]
	v_mov_b32_e32 v38, v37
	s_waitcnt lgkmcnt(0)
	s_barrier
	s_waitcnt vmcnt(3)
	v_mov_b32_e32 v46, v16
	s_waitcnt vmcnt(2)
	v_mov_b32_e32 v47, v20
	v_mov_b32_e32 v20, v17
	v_pk_mul_f32 v[16:17], v[18:19], v[28:29] op_sel:[0,1]
	s_nop 0
	v_pk_fma_f32 v[48:49], v[18:19], v[28:29], v[16:17] op_sel:[0,0,1] op_sel_hi:[1,1,0]
	v_pk_fma_f32 v[16:17], v[18:19], v[28:29], v[16:17] op_sel:[0,0,1] op_sel_hi:[1,0,0] neg_lo:[1,0,0] neg_hi:[1,0,0]
	s_waitcnt vmcnt(1)
	v_mov_b32_e32 v28, v12
	s_waitcnt vmcnt(0)
	v_mov_b32_e32 v29, v24
	v_mov_b32_e32 v24, v13
	v_pk_mul_f32 v[12:13], v[22:23], v[0:1] op_sel_hi:[1,0]
	v_mov_b32_e32 v18, v34
	v_mov_b32_e32 v19, v30
	;; [unrolled: 1-line block ×3, first 2 shown]
	v_pk_fma_f32 v[34:35], v[22:23], v[42:43], v[12:13] op_sel:[0,0,1] op_sel_hi:[1,1,0] neg_lo:[0,0,1] neg_hi:[0,0,1]
	v_pk_fma_f32 v[0:1], v[22:23], v[0:1], v[12:13] op_sel:[0,1,1] op_sel_hi:[1,1,0]
	v_pk_mul_f32 v[22:23], v[26:27], v[32:33] op_sel_hi:[1,0]
	v_mov_b32_e32 v49, v17
	v_pk_fma_f32 v[36:37], v[26:27], v[36:37], v[22:23] op_sel:[0,0,1] op_sel_hi:[1,1,0] neg_lo:[0,0,1] neg_hi:[0,0,1]
	v_pk_fma_f32 v[22:23], v[26:27], v[32:33], v[22:23] op_sel:[0,1,1] op_sel_hi:[1,1,0]
	v_pk_mul_f32 v[16:17], v[24:25], v[30:31]
	v_pk_mul_f32 v[12:13], v[20:21], v[38:39]
	;; [unrolled: 1-line block ×3, first 2 shown]
	v_mov_b32_e32 v35, v1
	v_mov_b32_e32 v37, v23
	v_pk_fma_f32 v[16:17], v[28:29], v[18:19], v[16:17]
	v_pk_mul_f32 v[18:19], v[24:25], v[18:19]
	v_pk_fma_f32 v[0:1], v[46:47], v[44:45], v[12:13]
	v_pk_fma_f32 v[12:13], v[46:47], v[38:39], v[20:21] neg_lo:[0,0,1] neg_hi:[0,0,1]
	v_pk_fma_f32 v[18:19], v[28:29], v[30:31], v[18:19] neg_lo:[0,0,1] neg_hi:[0,0,1]
	v_pk_add_f32 v[20:21], v[40:41], v[48:49] neg_lo:[0,1] neg_hi:[0,1]
	v_pk_add_f32 v[22:23], v[34:35], v[36:37] neg_lo:[0,1] neg_hi:[0,1]
	;; [unrolled: 1-line block ×4, first 2 shown]
	v_pk_add_f32 v[24:25], v[20:21], v[22:23]
	v_pk_add_f32 v[26:27], v[20:21], v[22:23] neg_lo:[0,1] neg_hi:[0,1]
	v_pk_add_f32 v[28:29], v[18:19], v[16:17] op_sel:[0,1] op_sel_hi:[1,0] neg_lo:[0,1] neg_hi:[0,1]
	v_mov_b32_e32 v25, v27
	v_pk_add_f32 v[26:27], v[18:19], v[16:17] op_sel:[0,1] op_sel_hi:[1,0]
	v_pk_fma_f32 v[22:23], v[34:35], 2.0, v[22:23] op_sel_hi:[1,0,1] neg_lo:[0,0,1] neg_hi:[0,0,1]
	v_mov_b32_e32 v27, v29
	v_pk_mul_f32 v[28:29], v[26:27], s[2:3] op_sel_hi:[1,0]
	v_pk_fma_f32 v[30:31], v[26:27], s[2:3], v[24:25] op_sel_hi:[1,0,1]
	v_mov_b32_e32 v34, v19
	v_pk_add_f32 v[32:33], v[30:31], v[28:29] op_sel:[0,1] op_sel_hi:[1,0]
	v_pk_add_f32 v[28:29], v[30:31], v[28:29] op_sel:[0,1] op_sel_hi:[1,0] neg_lo:[0,1] neg_hi:[0,1]
	v_mov_b32_e32 v30, v13
	v_mov_b32_e32 v13, v0
	;; [unrolled: 1-line block ×5, first 2 shown]
	v_pk_fma_f32 v[28:29], v[40:41], 2.0, v[20:21] op_sel_hi:[1,0,1] neg_lo:[0,0,1] neg_hi:[0,0,1]
	v_mov_b32_e32 v31, v1
	v_mov_b32_e32 v35, v17
	;; [unrolled: 1-line block ×3, first 2 shown]
	v_pk_fma_f32 v[20:21], v[20:21], 2.0, v[24:25] op_sel_hi:[1,0,1] neg_lo:[0,0,1] neg_hi:[0,0,1]
	v_pk_fma_f32 v[16:17], v[18:19], 2.0, v[26:27] op_sel_hi:[1,0,1] neg_lo:[0,0,1] neg_hi:[0,0,1]
	;; [unrolled: 1-line block ×4, first 2 shown]
	v_pk_mul_f32 v[18:19], v[16:17], s[2:3] op_sel_hi:[1,0]
	v_pk_fma_f32 v[16:17], v[16:17], s[2:3], v[20:21] op_sel_hi:[1,0,1] neg_lo:[1,0,0] neg_hi:[1,0,0]
	v_pk_add_f32 v[12:13], v[28:29], v[22:23] op_sel:[0,1] op_sel_hi:[1,0] neg_lo:[0,1] neg_hi:[0,1]
	v_pk_add_f32 v[0:1], v[30:31], v[0:1] neg_lo:[0,1] neg_hi:[0,1]
	v_pk_add_f32 v[26:27], v[16:17], v[18:19] op_sel:[0,1] op_sel_hi:[1,0]
	v_pk_add_f32 v[16:17], v[16:17], v[18:19] op_sel:[0,1] op_sel_hi:[1,0] neg_lo:[0,1] neg_hi:[0,1]
	v_pk_add_f32 v[22:23], v[12:13], v[0:1]
	v_pk_add_f32 v[34:35], v[12:13], v[0:1] neg_lo:[0,1] neg_hi:[0,1]
	v_mov_b32_e32 v27, v17
	v_mov_b32_e32 v23, v35
	v_pk_fma_f32 v[16:17], v[20:21], 2.0, v[26:27] op_sel_hi:[1,0,1] neg_lo:[0,0,1] neg_hi:[0,0,1]
	ds_write_b64 v54, v[16:17]
	v_pk_fma_f32 v[16:17], v[12:13], 2.0, v[22:23] op_sel_hi:[1,0,1] neg_lo:[0,0,1] neg_hi:[0,0,1]
	v_pk_fma_f32 v[12:13], v[28:29], 2.0, v[12:13] op_sel_hi:[1,0,1] neg_lo:[0,0,1] neg_hi:[0,0,1]
	;; [unrolled: 1-line block ×3, first 2 shown]
	ds_write_b64 v55, v[16:17]
	v_pk_add_f32 v[0:1], v[12:13], v[0:1] op_sel:[0,1] op_sel_hi:[1,0] neg_lo:[0,1] neg_hi:[0,1]
	v_pk_fma_f32 v[16:17], v[24:25], 2.0, v[32:33] op_sel_hi:[1,0,1] neg_lo:[0,0,1] neg_hi:[0,0,1]
	v_pk_fma_f32 v[12:13], v[12:13], 2.0, v[0:1] op_sel_hi:[1,0,1] neg_lo:[0,0,1] neg_hi:[0,0,1]
	ds_write_b64 v56, v[16:17]
	ds_write_b64 v11, v[12:13]
	;; [unrolled: 1-line block ×6, first 2 shown]
	s_waitcnt lgkmcnt(0)
	s_barrier
	ds_read_b64 v[12:13], v14
	v_cmp_ne_u32_e64 s[2:3], 0, v2
                                        ; implicit-def: $vgpr1
                                        ; implicit-def: $vgpr0
	s_and_saveexec_b64 s[8:9], s[2:3]
	s_xor_b64 s[2:3], exec, s[8:9]
	s_cbranch_execz .LBB0_6
; %bb.5:
	v_mov_b32_e32 v3, 0
	v_lshl_add_u64 v[0:1], v[2:3], 3, s[4:5]
	global_load_dwordx2 v[0:1], v[0:1], off offset:1008
	ds_read_b64 v[16:17], v15 offset:1024
	s_waitcnt lgkmcnt(0)
	v_pk_add_f32 v[18:19], v[16:17], v[12:13]
	v_pk_add_f32 v[12:13], v[12:13], v[16:17] neg_lo:[0,1] neg_hi:[0,1]
	v_pk_mul_f32 v[16:17], v[18:19], 0.5 op_sel_hi:[1,0]
	v_mul_f32_e32 v3, 0.5, v12
	v_mul_f32_e32 v5, 0.5, v13
	s_waitcnt vmcnt(0)
	v_mul_f32_e32 v12, v1, v3
	v_mov_b32_e32 v13, v0
	v_fma_f32 v20, v1, v3, v16
	v_fma_f32 v9, v17, v1, v5
	v_fma_f32 v1, v17, v1, -v5
	v_pk_mul_f32 v[16:17], v[16:17], v[12:13]
	v_pk_fma_f32 v[12:13], v[18:19], 0.5, v[12:13] op_sel_hi:[1,0,1] neg_lo:[0,0,1] neg_hi:[0,0,1]
	v_fma_f32 v5, -v0, v3, v9
	v_fma_f32 v0, -v0, v3, v1
	v_mov_b32_e32 v1, v12
	v_mov_b32_e32 v21, v17
	ds_write_b32 v14, v5 offset:4
	ds_write_b32 v15, v0 offset:1028
	v_pk_add_f32 v[0:1], v[0:1], v[20:21] neg_lo:[0,1] neg_hi:[0,1]
                                        ; implicit-def: $vgpr12_vgpr13
	s_nop 0
	v_add_f32_e32 v0, v17, v20
.LBB0_6:
	s_andn2_saveexec_b64 s[2:3], s[2:3]
	s_cbranch_execz .LBB0_8
; %bb.7:
	v_mov_b32_e32 v0, 0
	ds_write_b32 v14, v0 offset:4
	ds_write_b32 v15, v0 offset:1028
	ds_read_b32 v3, v7 offset:516
	s_waitcnt lgkmcnt(3)
	v_pk_add_f32 v[0:1], v[12:13], v[12:13] op_sel:[0,1] op_sel_hi:[0,1] neg_lo:[0,1] neg_hi:[0,1]
	s_waitcnt lgkmcnt(0)
	v_xor_b32_e32 v0, 0x80000000, v3
	ds_write_b32 v7, v0 offset:516
	v_add_f32_e32 v0, v12, v13
.LBB0_8:
	s_or_b64 exec, exec, s[2:3]
	v_mov_b32_e32 v5, 0
	s_waitcnt lgkmcnt(0)
	v_lshl_add_u64 v[12:13], v[4:5], 3, s[4:5]
	global_load_dwordx2 v[12:13], v[12:13], off offset:1008
	v_mov_b32_e32 v11, v5
	v_lshl_add_u64 v[16:17], v[10:11], 3, s[4:5]
	global_load_dwordx2 v[16:17], v[16:17], off offset:1008
	v_mov_b32_e32 v9, v5
	v_lshl_add_u64 v[18:19], v[8:9], 3, s[4:5]
	global_load_dwordx2 v[18:19], v[18:19], off offset:1008
	ds_write_b32 v14, v0
	ds_write_b32 v15, v1 offset:1024
	v_lshl_add_u32 v3, v4, 3, v7
	ds_read_b64 v[0:1], v3
	ds_read_b64 v[20:21], v15 offset:896
	v_mov_b32_e32 v11, 0.5
	v_mov_b32_e32 v22, v11
	v_lshl_add_u32 v4, v10, 3, v7
	s_waitcnt lgkmcnt(0)
	v_pk_add_f32 v[24:25], v[0:1], v[20:21]
	v_pk_add_f32 v[0:1], v[0:1], v[20:21] neg_lo:[0,1] neg_hi:[0,1]
	v_mov_b32_e32 v20, v25
	v_mov_b32_e32 v21, v0
	v_pk_mul_f32 v[20:21], v[20:21], 0.5 op_sel_hi:[1,0]
	s_waitcnt vmcnt(2)
	v_mov_b32_e32 v23, v13
	v_mov_b32_e32 v25, v20
	;; [unrolled: 1-line block ×4, first 2 shown]
	v_pk_mul_f32 v[22:23], v[24:25], v[22:23]
	s_waitcnt vmcnt(1)
	v_mov_b32_e32 v9, v17
	v_pk_fma_f32 v[24:25], v[10:11], v[0:1], v[22:23] neg_lo:[1,0,0] neg_hi:[1,0,0]
	v_pk_fma_f32 v[0:1], v[10:11], v[0:1], v[22:23]
	v_pk_fma_f32 v[22:23], v[12:13], v[20:21], v[24:25] op_sel_hi:[0,1,1] neg_lo:[1,0,0] neg_hi:[1,0,0]
	v_pk_fma_f32 v[24:25], v[12:13], v[20:21], v[0:1] op_sel_hi:[0,1,1]
	v_pk_fma_f32 v[0:1], v[12:13], v[20:21], v[0:1] op_sel_hi:[0,1,1] neg_lo:[1,0,0] neg_hi:[1,0,0]
	v_mov_b32_e32 v25, v1
	ds_write_b64 v3, v[24:25]
	ds_write_b64 v15, v[22:23] offset:896
	ds_read_b64 v[0:1], v4
	ds_read_b64 v[12:13], v15 offset:768
	v_lshl_add_u32 v3, v8, 3, v7
	v_mov_b32_e32 v8, v11
	v_mov_b32_e32 v10, v17
	s_waitcnt lgkmcnt(0)
	v_pk_add_f32 v[20:21], v[0:1], v[12:13]
	v_pk_add_f32 v[0:1], v[0:1], v[12:13] neg_lo:[0,1] neg_hi:[0,1]
	v_mov_b32_e32 v12, v21
	v_mov_b32_e32 v13, v0
	v_pk_mul_f32 v[12:13], v[12:13], 0.5 op_sel_hi:[1,0]
	s_nop 0
	v_mov_b32_e32 v21, v12
	v_mov_b32_e32 v0, v13
	v_pk_mul_f32 v[8:9], v[20:21], v[8:9]
	s_nop 0
	v_pk_fma_f32 v[20:21], v[10:11], v[0:1], v[8:9] neg_lo:[1,0,0] neg_hi:[1,0,0]
	v_pk_fma_f32 v[0:1], v[10:11], v[0:1], v[8:9]
	v_pk_fma_f32 v[8:9], v[16:17], v[12:13], v[20:21] op_sel_hi:[0,1,1] neg_lo:[1,0,0] neg_hi:[1,0,0]
	v_pk_fma_f32 v[20:21], v[16:17], v[12:13], v[0:1] op_sel_hi:[0,1,1]
	v_pk_fma_f32 v[0:1], v[16:17], v[12:13], v[0:1] op_sel_hi:[0,1,1] neg_lo:[1,0,0] neg_hi:[1,0,0]
	v_mov_b32_e32 v21, v1
	ds_write_b64 v4, v[20:21]
	ds_write_b64 v15, v[8:9] offset:768
	ds_read_b64 v[0:1], v3
	ds_read_b64 v[8:9], v15 offset:640
	v_mov_b32_e32 v12, v11
	s_waitcnt vmcnt(0)
	v_mov_b32_e32 v13, v19
	v_mov_b32_e32 v10, v19
	s_waitcnt lgkmcnt(0)
	v_pk_add_f32 v[16:17], v[0:1], v[8:9]
	v_pk_add_f32 v[0:1], v[0:1], v[8:9] neg_lo:[0,1] neg_hi:[0,1]
	v_mov_b32_e32 v8, v17
	v_mov_b32_e32 v9, v0
	v_pk_mul_f32 v[8:9], v[8:9], 0.5 op_sel_hi:[1,0]
	s_nop 0
	v_mov_b32_e32 v17, v8
	v_mov_b32_e32 v0, v9
	v_pk_mul_f32 v[12:13], v[16:17], v[12:13]
	s_nop 0
	v_pk_fma_f32 v[16:17], v[10:11], v[0:1], v[12:13] neg_lo:[1,0,0] neg_hi:[1,0,0]
	v_pk_fma_f32 v[0:1], v[10:11], v[0:1], v[12:13]
	v_pk_fma_f32 v[10:11], v[18:19], v[8:9], v[16:17] op_sel_hi:[0,1,1] neg_lo:[1,0,0] neg_hi:[1,0,0]
	v_pk_fma_f32 v[12:13], v[18:19], v[8:9], v[0:1] op_sel_hi:[0,1,1]
	v_pk_fma_f32 v[0:1], v[18:19], v[8:9], v[0:1] op_sel_hi:[0,1,1] neg_lo:[1,0,0] neg_hi:[1,0,0]
	v_mov_b32_e32 v13, v1
	ds_write_b64 v3, v[12:13]
	ds_write_b64 v15, v[10:11] offset:640
	s_waitcnt lgkmcnt(0)
	s_barrier
	s_and_saveexec_b64 s[2:3], vcc
	s_cbranch_execz .LBB0_11
; %bb.9:
	v_mad_u64_u32 v[0:1], s[2:3], s6, v6, 0
	s_load_dwordx2 s[0:1], s[0:1], 0x58
	v_mov_b32_e32 v4, v1
	v_mad_u64_u32 v[12:13], s[2:3], s7, v6, v[4:5]
	v_lshl_add_u32 v6, v2, 3, v7
	ds_read2_b64 v[8:11], v6 offset1:16
	v_mov_b32_e32 v1, v12
	v_mov_b32_e32 v3, v5
	s_waitcnt lgkmcnt(0)
	v_lshl_add_u64 v[0:1], v[0:1], 3, s[0:1]
	v_lshl_add_u64 v[12:13], v[2:3], 3, v[0:1]
	global_store_dwordx2 v[12:13], v[8:9], off
	ds_read2_b64 v[12:15], v6 offset0:32 offset1:48
	v_add_u32_e32 v4, 16, v2
	v_lshl_add_u64 v[8:9], v[4:5], 3, v[0:1]
	v_add_u32_e32 v4, 32, v2
	global_store_dwordx2 v[8:9], v[10:11], off
	v_lshl_add_u64 v[8:9], v[4:5], 3, v[0:1]
	s_waitcnt lgkmcnt(0)
	global_store_dwordx2 v[8:9], v[12:13], off
	ds_read2_b64 v[8:11], v6 offset0:64 offset1:80
	v_add_u32_e32 v4, 48, v2
	v_lshl_add_u64 v[12:13], v[4:5], 3, v[0:1]
	v_add_u32_e32 v4, 64, v2
	global_store_dwordx2 v[12:13], v[14:15], off
	v_lshl_add_u64 v[12:13], v[4:5], 3, v[0:1]
	s_waitcnt lgkmcnt(0)
	global_store_dwordx2 v[12:13], v[8:9], off
	ds_read2_b64 v[12:15], v6 offset0:96 offset1:112
	v_add_u32_e32 v4, 0x50, v2
	v_lshl_add_u64 v[8:9], v[4:5], 3, v[0:1]
	v_add_u32_e32 v4, 0x60, v2
	global_store_dwordx2 v[8:9], v[10:11], off
	v_lshl_add_u64 v[8:9], v[4:5], 3, v[0:1]
	v_add_u32_e32 v4, 0x70, v2
	v_lshl_add_u64 v[4:5], v[4:5], 3, v[0:1]
	v_cmp_eq_u32_e32 vcc, 15, v2
	s_waitcnt lgkmcnt(0)
	global_store_dwordx2 v[8:9], v[12:13], off
	global_store_dwordx2 v[4:5], v[14:15], off
	s_and_b64 exec, exec, vcc
	s_cbranch_execz .LBB0_11
; %bb.10:
	ds_read_b64 v[2:3], v6 offset:904
	s_waitcnt lgkmcnt(0)
	global_store_dwordx2 v[0:1], v[2:3], off offset:1024
.LBB0_11:
	s_endpgm
	.section	.rodata,"a",@progbits
	.p2align	6, 0x0
	.amdhsa_kernel fft_rtc_back_len128_factors_2_8_8_wgs_128_tpt_16_dim1_sp_op_CI_CI_unitstride_sbrr_R2C_dirReg
		.amdhsa_group_segment_fixed_size 0
		.amdhsa_private_segment_fixed_size 0
		.amdhsa_kernarg_size 96
		.amdhsa_user_sgpr_count 2
		.amdhsa_user_sgpr_dispatch_ptr 0
		.amdhsa_user_sgpr_queue_ptr 0
		.amdhsa_user_sgpr_kernarg_segment_ptr 1
		.amdhsa_user_sgpr_dispatch_id 0
		.amdhsa_user_sgpr_kernarg_preload_length 0
		.amdhsa_user_sgpr_kernarg_preload_offset 0
		.amdhsa_user_sgpr_private_segment_size 0
		.amdhsa_uses_dynamic_stack 0
		.amdhsa_enable_private_segment 0
		.amdhsa_system_sgpr_workgroup_id_x 1
		.amdhsa_system_sgpr_workgroup_id_y 0
		.amdhsa_system_sgpr_workgroup_id_z 0
		.amdhsa_system_sgpr_workgroup_info 0
		.amdhsa_system_vgpr_workitem_id 0
		.amdhsa_next_free_vgpr 58
		.amdhsa_next_free_sgpr 14
		.amdhsa_accum_offset 60
		.amdhsa_reserve_vcc 1
		.amdhsa_float_round_mode_32 0
		.amdhsa_float_round_mode_16_64 0
		.amdhsa_float_denorm_mode_32 3
		.amdhsa_float_denorm_mode_16_64 3
		.amdhsa_dx10_clamp 1
		.amdhsa_ieee_mode 1
		.amdhsa_fp16_overflow 0
		.amdhsa_tg_split 0
		.amdhsa_exception_fp_ieee_invalid_op 0
		.amdhsa_exception_fp_denorm_src 0
		.amdhsa_exception_fp_ieee_div_zero 0
		.amdhsa_exception_fp_ieee_overflow 0
		.amdhsa_exception_fp_ieee_underflow 0
		.amdhsa_exception_fp_ieee_inexact 0
		.amdhsa_exception_int_div_zero 0
	.end_amdhsa_kernel
	.text
.Lfunc_end0:
	.size	fft_rtc_back_len128_factors_2_8_8_wgs_128_tpt_16_dim1_sp_op_CI_CI_unitstride_sbrr_R2C_dirReg, .Lfunc_end0-fft_rtc_back_len128_factors_2_8_8_wgs_128_tpt_16_dim1_sp_op_CI_CI_unitstride_sbrr_R2C_dirReg
                                        ; -- End function
	.section	.AMDGPU.csdata,"",@progbits
; Kernel info:
; codeLenInByte = 3228
; NumSgprs: 20
; NumVgprs: 58
; NumAgprs: 0
; TotalNumVgprs: 58
; ScratchSize: 0
; MemoryBound: 0
; FloatMode: 240
; IeeeMode: 1
; LDSByteSize: 0 bytes/workgroup (compile time only)
; SGPRBlocks: 2
; VGPRBlocks: 7
; NumSGPRsForWavesPerEU: 20
; NumVGPRsForWavesPerEU: 58
; AccumOffset: 60
; Occupancy: 8
; WaveLimiterHint : 1
; COMPUTE_PGM_RSRC2:SCRATCH_EN: 0
; COMPUTE_PGM_RSRC2:USER_SGPR: 2
; COMPUTE_PGM_RSRC2:TRAP_HANDLER: 0
; COMPUTE_PGM_RSRC2:TGID_X_EN: 1
; COMPUTE_PGM_RSRC2:TGID_Y_EN: 0
; COMPUTE_PGM_RSRC2:TGID_Z_EN: 0
; COMPUTE_PGM_RSRC2:TIDIG_COMP_CNT: 0
; COMPUTE_PGM_RSRC3_GFX90A:ACCUM_OFFSET: 14
; COMPUTE_PGM_RSRC3_GFX90A:TG_SPLIT: 0
	.text
	.p2alignl 6, 3212836864
	.fill 256, 4, 3212836864
	.type	__hip_cuid_54313796d6f1c755,@object ; @__hip_cuid_54313796d6f1c755
	.section	.bss,"aw",@nobits
	.globl	__hip_cuid_54313796d6f1c755
__hip_cuid_54313796d6f1c755:
	.byte	0                               ; 0x0
	.size	__hip_cuid_54313796d6f1c755, 1

	.ident	"AMD clang version 19.0.0git (https://github.com/RadeonOpenCompute/llvm-project roc-6.4.0 25133 c7fe45cf4b819c5991fe208aaa96edf142730f1d)"
	.section	".note.GNU-stack","",@progbits
	.addrsig
	.addrsig_sym __hip_cuid_54313796d6f1c755
	.amdgpu_metadata
---
amdhsa.kernels:
  - .agpr_count:     0
    .args:
      - .actual_access:  read_only
        .address_space:  global
        .offset:         0
        .size:           8
        .value_kind:     global_buffer
      - .actual_access:  read_only
        .address_space:  global
        .offset:         8
        .size:           8
        .value_kind:     global_buffer
      - .actual_access:  read_only
        .address_space:  global
        .offset:         16
        .size:           8
        .value_kind:     global_buffer
      - .actual_access:  read_only
        .address_space:  global
        .offset:         24
        .size:           8
        .value_kind:     global_buffer
      - .offset:         32
        .size:           8
        .value_kind:     by_value
      - .actual_access:  read_only
        .address_space:  global
        .offset:         40
        .size:           8
        .value_kind:     global_buffer
      - .actual_access:  read_only
        .address_space:  global
        .offset:         48
        .size:           8
        .value_kind:     global_buffer
      - .offset:         56
        .size:           4
        .value_kind:     by_value
      - .actual_access:  read_only
        .address_space:  global
        .offset:         64
        .size:           8
        .value_kind:     global_buffer
      - .actual_access:  read_only
        .address_space:  global
        .offset:         72
        .size:           8
        .value_kind:     global_buffer
      - .actual_access:  read_only
        .address_space:  global
        .offset:         80
        .size:           8
        .value_kind:     global_buffer
      - .actual_access:  write_only
        .address_space:  global
        .offset:         88
        .size:           8
        .value_kind:     global_buffer
    .group_segment_fixed_size: 0
    .kernarg_segment_align: 8
    .kernarg_segment_size: 96
    .language:       OpenCL C
    .language_version:
      - 2
      - 0
    .max_flat_workgroup_size: 128
    .name:           fft_rtc_back_len128_factors_2_8_8_wgs_128_tpt_16_dim1_sp_op_CI_CI_unitstride_sbrr_R2C_dirReg
    .private_segment_fixed_size: 0
    .sgpr_count:     20
    .sgpr_spill_count: 0
    .symbol:         fft_rtc_back_len128_factors_2_8_8_wgs_128_tpt_16_dim1_sp_op_CI_CI_unitstride_sbrr_R2C_dirReg.kd
    .uniform_work_group_size: 1
    .uses_dynamic_stack: false
    .vgpr_count:     58
    .vgpr_spill_count: 0
    .wavefront_size: 64
amdhsa.target:   amdgcn-amd-amdhsa--gfx950
amdhsa.version:
  - 1
  - 2
...

	.end_amdgpu_metadata
